;; amdgpu-corpus repo=ROCm/rocSOLVER kind=compiled arch=gfx906 opt=O3
	.amdgcn_target "amdgcn-amd-amdhsa--gfx906"
	.amdhsa_code_object_version 6
	.section	.text._ZN9rocsolver6v33100L10reset_infoIiiiEEvPT_T0_T1_S4_,"axG",@progbits,_ZN9rocsolver6v33100L10reset_infoIiiiEEvPT_T0_T1_S4_,comdat
	.globl	_ZN9rocsolver6v33100L10reset_infoIiiiEEvPT_T0_T1_S4_ ; -- Begin function _ZN9rocsolver6v33100L10reset_infoIiiiEEvPT_T0_T1_S4_
	.p2align	8
	.type	_ZN9rocsolver6v33100L10reset_infoIiiiEEvPT_T0_T1_S4_,@function
_ZN9rocsolver6v33100L10reset_infoIiiiEEvPT_T0_T1_S4_: ; @_ZN9rocsolver6v33100L10reset_infoIiiiEEvPT_T0_T1_S4_
; %bb.0:
	s_load_dword s7, s[4:5], 0x24
	s_load_dwordx4 s[0:3], s[4:5], 0x8
	s_waitcnt lgkmcnt(0)
	s_and_b32 s3, s7, 0xffff
	s_mul_i32 s6, s6, s3
	v_add_u32_e32 v0, s6, v0
	v_cmp_gt_i32_e32 vcc, s0, v0
	s_and_saveexec_b64 s[6:7], vcc
	s_cbranch_execz .LBB0_2
; %bb.1:
	s_load_dwordx2 s[4:5], s[4:5], 0x0
	v_ashrrev_i32_e32 v1, 31, v0
	v_mul_lo_u32 v2, v0, s2
	v_lshlrev_b64 v[0:1], 2, v[0:1]
	s_waitcnt lgkmcnt(0)
	v_mov_b32_e32 v3, s5
	v_add_co_u32_e32 v0, vcc, s4, v0
	v_addc_co_u32_e32 v1, vcc, v3, v1, vcc
	v_add_u32_e32 v2, s1, v2
	global_store_dword v[0:1], v2, off
.LBB0_2:
	s_endpgm
	.section	.rodata,"a",@progbits
	.p2align	6, 0x0
	.amdhsa_kernel _ZN9rocsolver6v33100L10reset_infoIiiiEEvPT_T0_T1_S4_
		.amdhsa_group_segment_fixed_size 0
		.amdhsa_private_segment_fixed_size 0
		.amdhsa_kernarg_size 280
		.amdhsa_user_sgpr_count 6
		.amdhsa_user_sgpr_private_segment_buffer 1
		.amdhsa_user_sgpr_dispatch_ptr 0
		.amdhsa_user_sgpr_queue_ptr 0
		.amdhsa_user_sgpr_kernarg_segment_ptr 1
		.amdhsa_user_sgpr_dispatch_id 0
		.amdhsa_user_sgpr_flat_scratch_init 0
		.amdhsa_user_sgpr_private_segment_size 0
		.amdhsa_uses_dynamic_stack 0
		.amdhsa_system_sgpr_private_segment_wavefront_offset 0
		.amdhsa_system_sgpr_workgroup_id_x 1
		.amdhsa_system_sgpr_workgroup_id_y 0
		.amdhsa_system_sgpr_workgroup_id_z 0
		.amdhsa_system_sgpr_workgroup_info 0
		.amdhsa_system_vgpr_workitem_id 0
		.amdhsa_next_free_vgpr 4
		.amdhsa_next_free_sgpr 8
		.amdhsa_reserve_vcc 1
		.amdhsa_reserve_flat_scratch 0
		.amdhsa_float_round_mode_32 0
		.amdhsa_float_round_mode_16_64 0
		.amdhsa_float_denorm_mode_32 3
		.amdhsa_float_denorm_mode_16_64 3
		.amdhsa_dx10_clamp 1
		.amdhsa_ieee_mode 1
		.amdhsa_fp16_overflow 0
		.amdhsa_exception_fp_ieee_invalid_op 0
		.amdhsa_exception_fp_denorm_src 0
		.amdhsa_exception_fp_ieee_div_zero 0
		.amdhsa_exception_fp_ieee_overflow 0
		.amdhsa_exception_fp_ieee_underflow 0
		.amdhsa_exception_fp_ieee_inexact 0
		.amdhsa_exception_int_div_zero 0
	.end_amdhsa_kernel
	.section	.text._ZN9rocsolver6v33100L10reset_infoIiiiEEvPT_T0_T1_S4_,"axG",@progbits,_ZN9rocsolver6v33100L10reset_infoIiiiEEvPT_T0_T1_S4_,comdat
.Lfunc_end0:
	.size	_ZN9rocsolver6v33100L10reset_infoIiiiEEvPT_T0_T1_S4_, .Lfunc_end0-_ZN9rocsolver6v33100L10reset_infoIiiiEEvPT_T0_T1_S4_
                                        ; -- End function
	.set _ZN9rocsolver6v33100L10reset_infoIiiiEEvPT_T0_T1_S4_.num_vgpr, 4
	.set _ZN9rocsolver6v33100L10reset_infoIiiiEEvPT_T0_T1_S4_.num_agpr, 0
	.set _ZN9rocsolver6v33100L10reset_infoIiiiEEvPT_T0_T1_S4_.numbered_sgpr, 8
	.set _ZN9rocsolver6v33100L10reset_infoIiiiEEvPT_T0_T1_S4_.num_named_barrier, 0
	.set _ZN9rocsolver6v33100L10reset_infoIiiiEEvPT_T0_T1_S4_.private_seg_size, 0
	.set _ZN9rocsolver6v33100L10reset_infoIiiiEEvPT_T0_T1_S4_.uses_vcc, 1
	.set _ZN9rocsolver6v33100L10reset_infoIiiiEEvPT_T0_T1_S4_.uses_flat_scratch, 0
	.set _ZN9rocsolver6v33100L10reset_infoIiiiEEvPT_T0_T1_S4_.has_dyn_sized_stack, 0
	.set _ZN9rocsolver6v33100L10reset_infoIiiiEEvPT_T0_T1_S4_.has_recursion, 0
	.set _ZN9rocsolver6v33100L10reset_infoIiiiEEvPT_T0_T1_S4_.has_indirect_call, 0
	.section	.AMDGPU.csdata,"",@progbits
; Kernel info:
; codeLenInByte = 108
; TotalNumSgprs: 12
; NumVgprs: 4
; ScratchSize: 0
; MemoryBound: 0
; FloatMode: 240
; IeeeMode: 1
; LDSByteSize: 0 bytes/workgroup (compile time only)
; SGPRBlocks: 1
; VGPRBlocks: 0
; NumSGPRsForWavesPerEU: 12
; NumVGPRsForWavesPerEU: 4
; Occupancy: 10
; WaveLimiterHint : 0
; COMPUTE_PGM_RSRC2:SCRATCH_EN: 0
; COMPUTE_PGM_RSRC2:USER_SGPR: 6
; COMPUTE_PGM_RSRC2:TRAP_HANDLER: 0
; COMPUTE_PGM_RSRC2:TGID_X_EN: 1
; COMPUTE_PGM_RSRC2:TGID_Y_EN: 0
; COMPUTE_PGM_RSRC2:TGID_Z_EN: 0
; COMPUTE_PGM_RSRC2:TIDIG_COMP_CNT: 0
	.section	.text._ZN9rocsolver6v33100L15rf_sumLU_kernelIfEEviiPiS2_PT_iS2_S2_S4_S2_S2_S4_,"axG",@progbits,_ZN9rocsolver6v33100L15rf_sumLU_kernelIfEEviiPiS2_PT_iS2_S2_S4_S2_S2_S4_,comdat
	.globl	_ZN9rocsolver6v33100L15rf_sumLU_kernelIfEEviiPiS2_PT_iS2_S2_S4_S2_S2_S4_ ; -- Begin function _ZN9rocsolver6v33100L15rf_sumLU_kernelIfEEviiPiS2_PT_iS2_S2_S4_S2_S2_S4_
	.p2align	8
	.type	_ZN9rocsolver6v33100L15rf_sumLU_kernelIfEEviiPiS2_PT_iS2_S2_S4_S2_S2_S4_,@function
_ZN9rocsolver6v33100L15rf_sumLU_kernelIfEEviiPiS2_PT_iS2_S2_S4_S2_S2_S4_: ; @_ZN9rocsolver6v33100L15rf_sumLU_kernelIfEEviiPiS2_PT_iS2_S2_S4_S2_S2_S4_
; %bb.0:
	s_load_dword s26, s[4:5], 0x0
	s_load_dwordx4 s[16:19], s[4:5], 0x8
	s_load_dwordx2 s[2:3], s[4:5], 0x18
	s_load_dwordx8 s[8:15], s[4:5], 0x28
	s_load_dwordx4 s[20:23], s[4:5], 0x48
	s_waitcnt lgkmcnt(0)
	v_cmp_ge_i32_e32 vcc, s26, v0
	s_and_saveexec_b64 s[6:7], vcc
	s_cbranch_execz .LBB1_3
; %bb.1:
	s_load_dword s0, s[4:5], 0x64
	v_sub_u32_e32 v3, 0, v0
	s_mov_b64 s[24:25], 0
	v_mov_b32_e32 v4, s17
	v_mov_b32_e32 v5, s9
	s_waitcnt lgkmcnt(0)
	s_and_b32 s27, s0, 0xffff
	v_mov_b32_e32 v6, s15
	v_mov_b32_e32 v1, v0
.LBB1_2:                                ; =>This Inner Loop Header: Depth=1
	v_ashrrev_i32_e32 v2, 31, v1
	v_lshlrev_b64 v[7:8], 2, v[1:2]
	v_add_u32_e32 v1, s27, v1
	v_add_co_u32_e32 v9, vcc, s16, v7
	v_addc_co_u32_e32 v10, vcc, v4, v8, vcc
	v_add_co_u32_e32 v11, vcc, s8, v7
	v_addc_co_u32_e32 v12, vcc, v5, v8, vcc
	global_load_dword v2, v[9:10], off
	global_load_dword v13, v[11:12], off
	v_cmp_lt_i32_e32 vcc, s26, v1
	v_add_co_u32_e64 v7, s[0:1], s14, v7
	v_addc_co_u32_e64 v8, s[0:1], v6, v8, s[0:1]
	s_or_b64 s[24:25], vcc, s[24:25]
	s_waitcnt vmcnt(0)
	v_add3_u32 v2, v2, v13, v3
	v_subrev_u32_e32 v3, s27, v3
	global_store_dword v[7:8], v2, off
	s_andn2_b64 exec, exec, s[24:25]
	s_cbranch_execnz .LBB1_2
.LBB1_3:
	s_or_b64 exec, exec, s[6:7]
	v_cmp_gt_i32_e32 vcc, s26, v0
	s_waitcnt vmcnt(0)
	s_barrier
	s_and_saveexec_b64 s[0:1], vcc
	s_cbranch_execz .LBB1_12
; %bb.4:
	s_load_dword s4, s[4:5], 0x64
	s_mov_b64 s[0:1], 0
	v_mov_b32_e32 v11, s17
	s_waitcnt lgkmcnt(0)
	s_and_b32 s24, s4, 0xffff
	s_branch .LBB1_6
.LBB1_5:                                ;   in Loop: Header=BB1_6 Depth=1
	s_or_b64 exec, exec, s[4:5]
	v_add_u32_e32 v0, s24, v0
	v_cmp_le_i32_e32 vcc, s26, v0
	s_or_b64 s[0:1], vcc, s[0:1]
	s_andn2_b64 exec, exec, s[0:1]
	s_cbranch_execz .LBB1_12
.LBB1_6:                                ; =>This Loop Header: Depth=1
                                        ;     Child Loop BB1_8 Depth 2
                                        ;     Child Loop BB1_11 Depth 2
	v_ashrrev_i32_e32 v1, 31, v0
	v_lshlrev_b64 v[1:2], 2, v[0:1]
	v_add_co_u32_e32 v3, vcc, s16, v1
	v_addc_co_u32_e32 v4, vcc, v11, v2, vcc
	global_load_dwordx2 v[3:4], v[3:4], off
	s_waitcnt vmcnt(0)
	v_add_u32_e32 v12, -1, v4
	v_cmp_lt_i32_e32 vcc, v3, v12
	s_and_saveexec_b64 s[4:5], vcc
	s_cbranch_execz .LBB1_9
; %bb.7:                                ;   in Loop: Header=BB1_6 Depth=1
	v_mov_b32_e32 v4, s15
	v_add_co_u32_e32 v5, vcc, s14, v1
	v_addc_co_u32_e32 v6, vcc, v4, v2, vcc
	v_ashrrev_i32_e32 v4, 31, v3
	v_lshlrev_b64 v[9:10], 2, v[3:4]
	v_mov_b32_e32 v4, s19
	v_add_co_u32_e32 v7, vcc, s18, v9
	v_addc_co_u32_e32 v8, vcc, v4, v10, vcc
	v_mov_b32_e32 v4, s3
	v_add_co_u32_e32 v9, vcc, s2, v9
	v_addc_co_u32_e32 v10, vcc, v4, v10, vcc
	s_mov_b32 s17, 0
	s_mov_b64 s[6:7], 0
.LBB1_8:                                ;   Parent Loop BB1_6 Depth=1
                                        ; =>  This Inner Loop Header: Depth=2
	global_load_dword v4, v[5:6], off
	global_load_dword v17, v[7:8], off
	;; [unrolled: 1-line block ×3, first 2 shown]
	v_add_co_u32_e32 v7, vcc, 4, v7
	v_addc_co_u32_e32 v8, vcc, 0, v8, vcc
	v_add_co_u32_e32 v9, vcc, 4, v9
	v_addc_co_u32_e32 v10, vcc, 0, v10, vcc
	v_mov_b32_e32 v16, s21
	v_mov_b32_e32 v19, s23
	s_waitcnt vmcnt(2)
	v_add_u32_e32 v13, s17, v4
	s_add_i32 s17, s17, 1
	v_ashrrev_i32_e32 v14, 31, v13
	v_add_u32_e32 v4, s17, v3
	v_lshlrev_b64 v[13:14], 2, v[13:14]
	v_cmp_ge_i32_e32 vcc, v4, v12
	s_or_b64 s[6:7], vcc, s[6:7]
	v_add_co_u32_e32 v15, vcc, s20, v13
	v_addc_co_u32_e32 v16, vcc, v16, v14, vcc
	v_add_co_u32_e32 v13, vcc, s22, v13
	v_addc_co_u32_e32 v14, vcc, v19, v14, vcc
	s_waitcnt vmcnt(1)
	global_store_dword v[15:16], v17, off
	s_waitcnt vmcnt(1)
	global_store_dword v[13:14], v18, off
	s_andn2_b64 exec, exec, s[6:7]
	s_cbranch_execnz .LBB1_8
.LBB1_9:                                ;   in Loop: Header=BB1_6 Depth=1
	s_or_b64 exec, exec, s[4:5]
	v_mov_b32_e32 v4, s9
	v_add_co_u32_e32 v3, vcc, s8, v1
	v_addc_co_u32_e32 v4, vcc, v4, v2, vcc
	global_load_dwordx2 v[3:4], v[3:4], off
	s_waitcnt vmcnt(0)
	v_cmp_lt_i32_e32 vcc, v3, v4
	s_and_saveexec_b64 s[4:5], vcc
	s_cbranch_execz .LBB1_5
; %bb.10:                               ;   in Loop: Header=BB1_6 Depth=1
	v_mov_b32_e32 v5, s15
	v_add_co_u32_e32 v1, vcc, s14, v1
	v_addc_co_u32_e32 v2, vcc, v5, v2, vcc
	v_ashrrev_i32_e32 v6, 31, v3
	v_mov_b32_e32 v5, v3
	v_lshlrev_b64 v[7:8], 2, v[5:6]
	v_mov_b32_e32 v6, s11
	v_add_co_u32_e32 v5, vcc, s10, v7
	v_addc_co_u32_e32 v6, vcc, v6, v8, vcc
	v_mov_b32_e32 v10, s13
	v_add_co_u32_e32 v7, vcc, s12, v7
	v_sub_u32_e32 v9, 0, v4
	v_addc_co_u32_e32 v8, vcc, v10, v8, vcc
	s_mov_b64 s[6:7], 0
.LBB1_11:                               ;   Parent Loop BB1_6 Depth=1
                                        ; =>  This Inner Loop Header: Depth=2
	global_load_dword v10, v[1:2], off offset:4
	global_load_dword v16, v[5:6], off
	global_load_dword v17, v[7:8], off
	v_add_co_u32_e32 v5, vcc, 4, v5
	v_addc_co_u32_e32 v6, vcc, 0, v6, vcc
	v_add_co_u32_e32 v7, vcc, 4, v7
	v_addc_co_u32_e32 v8, vcc, 0, v8, vcc
	v_mov_b32_e32 v15, s21
	v_mov_b32_e32 v18, s23
	s_waitcnt vmcnt(2)
	v_add3_u32 v12, v9, v3, v10
	v_ashrrev_i32_e32 v13, 31, v12
	v_add_u32_e32 v3, 1, v3
	v_lshlrev_b64 v[12:13], 2, v[12:13]
	v_cmp_ge_i32_e32 vcc, v3, v4
	s_or_b64 s[6:7], vcc, s[6:7]
	v_add_co_u32_e32 v14, vcc, s20, v12
	v_addc_co_u32_e32 v15, vcc, v15, v13, vcc
	v_add_co_u32_e32 v12, vcc, s22, v12
	v_addc_co_u32_e32 v13, vcc, v18, v13, vcc
	s_waitcnt vmcnt(1)
	global_store_dword v[14:15], v16, off
	s_waitcnt vmcnt(1)
	global_store_dword v[12:13], v17, off
	s_andn2_b64 exec, exec, s[6:7]
	s_cbranch_execnz .LBB1_11
	s_branch .LBB1_5
.LBB1_12:
	s_endpgm
	.section	.rodata,"a",@progbits
	.p2align	6, 0x0
	.amdhsa_kernel _ZN9rocsolver6v33100L15rf_sumLU_kernelIfEEviiPiS2_PT_iS2_S2_S4_S2_S2_S4_
		.amdhsa_group_segment_fixed_size 0
		.amdhsa_private_segment_fixed_size 0
		.amdhsa_kernarg_size 344
		.amdhsa_user_sgpr_count 6
		.amdhsa_user_sgpr_private_segment_buffer 1
		.amdhsa_user_sgpr_dispatch_ptr 0
		.amdhsa_user_sgpr_queue_ptr 0
		.amdhsa_user_sgpr_kernarg_segment_ptr 1
		.amdhsa_user_sgpr_dispatch_id 0
		.amdhsa_user_sgpr_flat_scratch_init 0
		.amdhsa_user_sgpr_private_segment_size 0
		.amdhsa_uses_dynamic_stack 0
		.amdhsa_system_sgpr_private_segment_wavefront_offset 0
		.amdhsa_system_sgpr_workgroup_id_x 1
		.amdhsa_system_sgpr_workgroup_id_y 0
		.amdhsa_system_sgpr_workgroup_id_z 0
		.amdhsa_system_sgpr_workgroup_info 0
		.amdhsa_system_vgpr_workitem_id 0
		.amdhsa_next_free_vgpr 20
		.amdhsa_next_free_sgpr 28
		.amdhsa_reserve_vcc 1
		.amdhsa_reserve_flat_scratch 0
		.amdhsa_float_round_mode_32 0
		.amdhsa_float_round_mode_16_64 0
		.amdhsa_float_denorm_mode_32 3
		.amdhsa_float_denorm_mode_16_64 3
		.amdhsa_dx10_clamp 1
		.amdhsa_ieee_mode 1
		.amdhsa_fp16_overflow 0
		.amdhsa_exception_fp_ieee_invalid_op 0
		.amdhsa_exception_fp_denorm_src 0
		.amdhsa_exception_fp_ieee_div_zero 0
		.amdhsa_exception_fp_ieee_overflow 0
		.amdhsa_exception_fp_ieee_underflow 0
		.amdhsa_exception_fp_ieee_inexact 0
		.amdhsa_exception_int_div_zero 0
	.end_amdhsa_kernel
	.section	.text._ZN9rocsolver6v33100L15rf_sumLU_kernelIfEEviiPiS2_PT_iS2_S2_S4_S2_S2_S4_,"axG",@progbits,_ZN9rocsolver6v33100L15rf_sumLU_kernelIfEEviiPiS2_PT_iS2_S2_S4_S2_S2_S4_,comdat
.Lfunc_end1:
	.size	_ZN9rocsolver6v33100L15rf_sumLU_kernelIfEEviiPiS2_PT_iS2_S2_S4_S2_S2_S4_, .Lfunc_end1-_ZN9rocsolver6v33100L15rf_sumLU_kernelIfEEviiPiS2_PT_iS2_S2_S4_S2_S2_S4_
                                        ; -- End function
	.set _ZN9rocsolver6v33100L15rf_sumLU_kernelIfEEviiPiS2_PT_iS2_S2_S4_S2_S2_S4_.num_vgpr, 20
	.set _ZN9rocsolver6v33100L15rf_sumLU_kernelIfEEviiPiS2_PT_iS2_S2_S4_S2_S2_S4_.num_agpr, 0
	.set _ZN9rocsolver6v33100L15rf_sumLU_kernelIfEEviiPiS2_PT_iS2_S2_S4_S2_S2_S4_.numbered_sgpr, 28
	.set _ZN9rocsolver6v33100L15rf_sumLU_kernelIfEEviiPiS2_PT_iS2_S2_S4_S2_S2_S4_.num_named_barrier, 0
	.set _ZN9rocsolver6v33100L15rf_sumLU_kernelIfEEviiPiS2_PT_iS2_S2_S4_S2_S2_S4_.private_seg_size, 0
	.set _ZN9rocsolver6v33100L15rf_sumLU_kernelIfEEviiPiS2_PT_iS2_S2_S4_S2_S2_S4_.uses_vcc, 1
	.set _ZN9rocsolver6v33100L15rf_sumLU_kernelIfEEviiPiS2_PT_iS2_S2_S4_S2_S2_S4_.uses_flat_scratch, 0
	.set _ZN9rocsolver6v33100L15rf_sumLU_kernelIfEEviiPiS2_PT_iS2_S2_S4_S2_S2_S4_.has_dyn_sized_stack, 0
	.set _ZN9rocsolver6v33100L15rf_sumLU_kernelIfEEviiPiS2_PT_iS2_S2_S4_S2_S2_S4_.has_recursion, 0
	.set _ZN9rocsolver6v33100L15rf_sumLU_kernelIfEEviiPiS2_PT_iS2_S2_S4_S2_S2_S4_.has_indirect_call, 0
	.section	.AMDGPU.csdata,"",@progbits
; Kernel info:
; codeLenInByte = 760
; TotalNumSgprs: 32
; NumVgprs: 20
; ScratchSize: 0
; MemoryBound: 0
; FloatMode: 240
; IeeeMode: 1
; LDSByteSize: 0 bytes/workgroup (compile time only)
; SGPRBlocks: 3
; VGPRBlocks: 4
; NumSGPRsForWavesPerEU: 32
; NumVGPRsForWavesPerEU: 20
; Occupancy: 10
; WaveLimiterHint : 1
; COMPUTE_PGM_RSRC2:SCRATCH_EN: 0
; COMPUTE_PGM_RSRC2:USER_SGPR: 6
; COMPUTE_PGM_RSRC2:TRAP_HANDLER: 0
; COMPUTE_PGM_RSRC2:TGID_X_EN: 1
; COMPUTE_PGM_RSRC2:TGID_Y_EN: 0
; COMPUTE_PGM_RSRC2:TGID_Z_EN: 0
; COMPUTE_PGM_RSRC2:TIDIG_COMP_CNT: 0
	.section	.text._ZN9rocsolver6v33100L15rf_sumLU_kernelIdEEviiPiS2_PT_iS2_S2_S4_S2_S2_S4_,"axG",@progbits,_ZN9rocsolver6v33100L15rf_sumLU_kernelIdEEviiPiS2_PT_iS2_S2_S4_S2_S2_S4_,comdat
	.globl	_ZN9rocsolver6v33100L15rf_sumLU_kernelIdEEviiPiS2_PT_iS2_S2_S4_S2_S2_S4_ ; -- Begin function _ZN9rocsolver6v33100L15rf_sumLU_kernelIdEEviiPiS2_PT_iS2_S2_S4_S2_S2_S4_
	.p2align	8
	.type	_ZN9rocsolver6v33100L15rf_sumLU_kernelIdEEviiPiS2_PT_iS2_S2_S4_S2_S2_S4_,@function
_ZN9rocsolver6v33100L15rf_sumLU_kernelIdEEviiPiS2_PT_iS2_S2_S4_S2_S2_S4_: ; @_ZN9rocsolver6v33100L15rf_sumLU_kernelIdEEviiPiS2_PT_iS2_S2_S4_S2_S2_S4_
; %bb.0:
	s_load_dword s26, s[4:5], 0x0
	s_load_dwordx4 s[16:19], s[4:5], 0x8
	s_load_dwordx2 s[2:3], s[4:5], 0x18
	s_load_dwordx8 s[8:15], s[4:5], 0x28
	s_load_dwordx4 s[20:23], s[4:5], 0x48
	s_waitcnt lgkmcnt(0)
	v_cmp_ge_i32_e32 vcc, s26, v0
	s_and_saveexec_b64 s[6:7], vcc
	s_cbranch_execz .LBB2_3
; %bb.1:
	s_load_dword s0, s[4:5], 0x64
	v_sub_u32_e32 v3, 0, v0
	s_mov_b64 s[24:25], 0
	v_mov_b32_e32 v4, s17
	v_mov_b32_e32 v5, s9
	s_waitcnt lgkmcnt(0)
	s_and_b32 s27, s0, 0xffff
	v_mov_b32_e32 v6, s15
	v_mov_b32_e32 v1, v0
.LBB2_2:                                ; =>This Inner Loop Header: Depth=1
	v_ashrrev_i32_e32 v2, 31, v1
	v_lshlrev_b64 v[7:8], 2, v[1:2]
	v_add_u32_e32 v1, s27, v1
	v_add_co_u32_e32 v9, vcc, s16, v7
	v_addc_co_u32_e32 v10, vcc, v4, v8, vcc
	v_add_co_u32_e32 v11, vcc, s8, v7
	v_addc_co_u32_e32 v12, vcc, v5, v8, vcc
	global_load_dword v2, v[9:10], off
	global_load_dword v13, v[11:12], off
	v_cmp_lt_i32_e32 vcc, s26, v1
	v_add_co_u32_e64 v7, s[0:1], s14, v7
	v_addc_co_u32_e64 v8, s[0:1], v6, v8, s[0:1]
	s_or_b64 s[24:25], vcc, s[24:25]
	s_waitcnt vmcnt(0)
	v_add3_u32 v2, v2, v13, v3
	v_subrev_u32_e32 v3, s27, v3
	global_store_dword v[7:8], v2, off
	s_andn2_b64 exec, exec, s[24:25]
	s_cbranch_execnz .LBB2_2
.LBB2_3:
	s_or_b64 exec, exec, s[6:7]
	v_cmp_gt_i32_e32 vcc, s26, v0
	s_waitcnt vmcnt(0)
	s_barrier
	s_and_saveexec_b64 s[0:1], vcc
	s_cbranch_execz .LBB2_12
; %bb.4:
	s_load_dword s4, s[4:5], 0x64
	s_mov_b64 s[0:1], 0
	v_mov_b32_e32 v11, s17
	s_waitcnt lgkmcnt(0)
	s_and_b32 s24, s4, 0xffff
	s_branch .LBB2_6
.LBB2_5:                                ;   in Loop: Header=BB2_6 Depth=1
	s_or_b64 exec, exec, s[4:5]
	v_add_u32_e32 v0, s24, v0
	v_cmp_le_i32_e32 vcc, s26, v0
	s_or_b64 s[0:1], vcc, s[0:1]
	s_andn2_b64 exec, exec, s[0:1]
	s_cbranch_execz .LBB2_12
.LBB2_6:                                ; =>This Loop Header: Depth=1
                                        ;     Child Loop BB2_8 Depth 2
                                        ;     Child Loop BB2_11 Depth 2
	v_ashrrev_i32_e32 v1, 31, v0
	v_lshlrev_b64 v[1:2], 2, v[0:1]
	v_add_co_u32_e32 v3, vcc, s16, v1
	v_addc_co_u32_e32 v4, vcc, v11, v2, vcc
	global_load_dwordx2 v[3:4], v[3:4], off
	s_waitcnt vmcnt(0)
	v_add_u32_e32 v12, -1, v4
	v_cmp_lt_i32_e32 vcc, v3, v12
	s_and_saveexec_b64 s[4:5], vcc
	s_cbranch_execz .LBB2_9
; %bb.7:                                ;   in Loop: Header=BB2_6 Depth=1
	v_mov_b32_e32 v4, s15
	v_add_co_u32_e32 v5, vcc, s14, v1
	v_addc_co_u32_e32 v6, vcc, v4, v2, vcc
	v_ashrrev_i32_e32 v4, 31, v3
	v_lshlrev_b64 v[7:8], 2, v[3:4]
	v_mov_b32_e32 v9, s19
	v_add_co_u32_e32 v7, vcc, s18, v7
	v_addc_co_u32_e32 v8, vcc, v9, v8, vcc
	v_lshlrev_b64 v[9:10], 3, v[3:4]
	v_mov_b32_e32 v4, s3
	v_add_co_u32_e32 v9, vcc, s2, v9
	v_addc_co_u32_e32 v10, vcc, v4, v10, vcc
	s_mov_b32 s17, 0
	s_mov_b64 s[6:7], 0
.LBB2_8:                                ;   Parent Loop BB2_6 Depth=1
                                        ; =>  This Inner Loop Header: Depth=2
	global_load_dword v4, v[5:6], off
	global_load_dword v19, v[7:8], off
	global_load_dwordx2 v[13:14], v[9:10], off
	v_add_co_u32_e32 v7, vcc, 4, v7
	v_addc_co_u32_e32 v8, vcc, 0, v8, vcc
	v_add_co_u32_e32 v9, vcc, 8, v9
	v_addc_co_u32_e32 v10, vcc, 0, v10, vcc
	v_mov_b32_e32 v20, s21
	v_mov_b32_e32 v21, s23
	s_waitcnt vmcnt(2)
	v_add_u32_e32 v15, s17, v4
	s_add_i32 s17, s17, 1
	v_ashrrev_i32_e32 v16, 31, v15
	v_add_u32_e32 v4, s17, v3
	v_lshlrev_b64 v[17:18], 2, v[15:16]
	v_cmp_ge_i32_e32 vcc, v4, v12
	v_lshlrev_b64 v[15:16], 3, v[15:16]
	s_or_b64 s[6:7], vcc, s[6:7]
	v_add_co_u32_e32 v17, vcc, s20, v17
	v_addc_co_u32_e32 v18, vcc, v20, v18, vcc
	v_add_co_u32_e32 v15, vcc, s22, v15
	v_addc_co_u32_e32 v16, vcc, v21, v16, vcc
	s_waitcnt vmcnt(1)
	global_store_dword v[17:18], v19, off
	s_waitcnt vmcnt(1)
	global_store_dwordx2 v[15:16], v[13:14], off
	s_andn2_b64 exec, exec, s[6:7]
	s_cbranch_execnz .LBB2_8
.LBB2_9:                                ;   in Loop: Header=BB2_6 Depth=1
	s_or_b64 exec, exec, s[4:5]
	v_mov_b32_e32 v4, s9
	v_add_co_u32_e32 v3, vcc, s8, v1
	v_addc_co_u32_e32 v4, vcc, v4, v2, vcc
	global_load_dwordx2 v[3:4], v[3:4], off
	s_waitcnt vmcnt(0)
	v_cmp_lt_i32_e32 vcc, v3, v4
	s_and_saveexec_b64 s[4:5], vcc
	s_cbranch_execz .LBB2_5
; %bb.10:                               ;   in Loop: Header=BB2_6 Depth=1
	v_mov_b32_e32 v5, s15
	v_add_co_u32_e32 v1, vcc, s14, v1
	v_ashrrev_i32_e32 v8, 31, v3
	v_mov_b32_e32 v7, v3
	v_addc_co_u32_e32 v2, vcc, v5, v2, vcc
	v_lshlrev_b64 v[5:6], 2, v[7:8]
	v_mov_b32_e32 v10, s11
	v_add_co_u32_e32 v5, vcc, s10, v5
	v_lshlrev_b64 v[7:8], 3, v[7:8]
	v_addc_co_u32_e32 v6, vcc, v10, v6, vcc
	v_mov_b32_e32 v10, s13
	v_add_co_u32_e32 v7, vcc, s12, v7
	v_sub_u32_e32 v9, 0, v4
	v_addc_co_u32_e32 v8, vcc, v10, v8, vcc
	s_mov_b64 s[6:7], 0
.LBB2_11:                               ;   Parent Loop BB2_6 Depth=1
                                        ; =>  This Inner Loop Header: Depth=2
	global_load_dword v10, v[1:2], off offset:4
	global_load_dword v18, v[5:6], off
	global_load_dwordx2 v[12:13], v[7:8], off
	v_add_co_u32_e32 v5, vcc, 4, v5
	v_addc_co_u32_e32 v6, vcc, 0, v6, vcc
	v_add_co_u32_e32 v7, vcc, 8, v7
	v_addc_co_u32_e32 v8, vcc, 0, v8, vcc
	v_mov_b32_e32 v19, s21
	v_mov_b32_e32 v20, s23
	s_waitcnt vmcnt(2)
	v_add3_u32 v14, v9, v3, v10
	v_ashrrev_i32_e32 v15, 31, v14
	v_add_u32_e32 v3, 1, v3
	v_lshlrev_b64 v[16:17], 2, v[14:15]
	v_cmp_ge_i32_e32 vcc, v3, v4
	v_lshlrev_b64 v[14:15], 3, v[14:15]
	s_or_b64 s[6:7], vcc, s[6:7]
	v_add_co_u32_e32 v16, vcc, s20, v16
	v_addc_co_u32_e32 v17, vcc, v19, v17, vcc
	v_add_co_u32_e32 v14, vcc, s22, v14
	v_addc_co_u32_e32 v15, vcc, v20, v15, vcc
	s_waitcnt vmcnt(1)
	global_store_dword v[16:17], v18, off
	s_waitcnt vmcnt(1)
	global_store_dwordx2 v[14:15], v[12:13], off
	s_andn2_b64 exec, exec, s[6:7]
	s_cbranch_execnz .LBB2_11
	s_branch .LBB2_5
.LBB2_12:
	s_endpgm
	.section	.rodata,"a",@progbits
	.p2align	6, 0x0
	.amdhsa_kernel _ZN9rocsolver6v33100L15rf_sumLU_kernelIdEEviiPiS2_PT_iS2_S2_S4_S2_S2_S4_
		.amdhsa_group_segment_fixed_size 0
		.amdhsa_private_segment_fixed_size 0
		.amdhsa_kernarg_size 344
		.amdhsa_user_sgpr_count 6
		.amdhsa_user_sgpr_private_segment_buffer 1
		.amdhsa_user_sgpr_dispatch_ptr 0
		.amdhsa_user_sgpr_queue_ptr 0
		.amdhsa_user_sgpr_kernarg_segment_ptr 1
		.amdhsa_user_sgpr_dispatch_id 0
		.amdhsa_user_sgpr_flat_scratch_init 0
		.amdhsa_user_sgpr_private_segment_size 0
		.amdhsa_uses_dynamic_stack 0
		.amdhsa_system_sgpr_private_segment_wavefront_offset 0
		.amdhsa_system_sgpr_workgroup_id_x 1
		.amdhsa_system_sgpr_workgroup_id_y 0
		.amdhsa_system_sgpr_workgroup_id_z 0
		.amdhsa_system_sgpr_workgroup_info 0
		.amdhsa_system_vgpr_workitem_id 0
		.amdhsa_next_free_vgpr 22
		.amdhsa_next_free_sgpr 28
		.amdhsa_reserve_vcc 1
		.amdhsa_reserve_flat_scratch 0
		.amdhsa_float_round_mode_32 0
		.amdhsa_float_round_mode_16_64 0
		.amdhsa_float_denorm_mode_32 3
		.amdhsa_float_denorm_mode_16_64 3
		.amdhsa_dx10_clamp 1
		.amdhsa_ieee_mode 1
		.amdhsa_fp16_overflow 0
		.amdhsa_exception_fp_ieee_invalid_op 0
		.amdhsa_exception_fp_denorm_src 0
		.amdhsa_exception_fp_ieee_div_zero 0
		.amdhsa_exception_fp_ieee_overflow 0
		.amdhsa_exception_fp_ieee_underflow 0
		.amdhsa_exception_fp_ieee_inexact 0
		.amdhsa_exception_int_div_zero 0
	.end_amdhsa_kernel
	.section	.text._ZN9rocsolver6v33100L15rf_sumLU_kernelIdEEviiPiS2_PT_iS2_S2_S4_S2_S2_S4_,"axG",@progbits,_ZN9rocsolver6v33100L15rf_sumLU_kernelIdEEviiPiS2_PT_iS2_S2_S4_S2_S2_S4_,comdat
.Lfunc_end2:
	.size	_ZN9rocsolver6v33100L15rf_sumLU_kernelIdEEviiPiS2_PT_iS2_S2_S4_S2_S2_S4_, .Lfunc_end2-_ZN9rocsolver6v33100L15rf_sumLU_kernelIdEEviiPiS2_PT_iS2_S2_S4_S2_S2_S4_
                                        ; -- End function
	.set _ZN9rocsolver6v33100L15rf_sumLU_kernelIdEEviiPiS2_PT_iS2_S2_S4_S2_S2_S4_.num_vgpr, 22
	.set _ZN9rocsolver6v33100L15rf_sumLU_kernelIdEEviiPiS2_PT_iS2_S2_S4_S2_S2_S4_.num_agpr, 0
	.set _ZN9rocsolver6v33100L15rf_sumLU_kernelIdEEviiPiS2_PT_iS2_S2_S4_S2_S2_S4_.numbered_sgpr, 28
	.set _ZN9rocsolver6v33100L15rf_sumLU_kernelIdEEviiPiS2_PT_iS2_S2_S4_S2_S2_S4_.num_named_barrier, 0
	.set _ZN9rocsolver6v33100L15rf_sumLU_kernelIdEEviiPiS2_PT_iS2_S2_S4_S2_S2_S4_.private_seg_size, 0
	.set _ZN9rocsolver6v33100L15rf_sumLU_kernelIdEEviiPiS2_PT_iS2_S2_S4_S2_S2_S4_.uses_vcc, 1
	.set _ZN9rocsolver6v33100L15rf_sumLU_kernelIdEEviiPiS2_PT_iS2_S2_S4_S2_S2_S4_.uses_flat_scratch, 0
	.set _ZN9rocsolver6v33100L15rf_sumLU_kernelIdEEviiPiS2_PT_iS2_S2_S4_S2_S2_S4_.has_dyn_sized_stack, 0
	.set _ZN9rocsolver6v33100L15rf_sumLU_kernelIdEEviiPiS2_PT_iS2_S2_S4_S2_S2_S4_.has_recursion, 0
	.set _ZN9rocsolver6v33100L15rf_sumLU_kernelIdEEviiPiS2_PT_iS2_S2_S4_S2_S2_S4_.has_indirect_call, 0
	.section	.AMDGPU.csdata,"",@progbits
; Kernel info:
; codeLenInByte = 792
; TotalNumSgprs: 32
; NumVgprs: 22
; ScratchSize: 0
; MemoryBound: 0
; FloatMode: 240
; IeeeMode: 1
; LDSByteSize: 0 bytes/workgroup (compile time only)
; SGPRBlocks: 3
; VGPRBlocks: 5
; NumSGPRsForWavesPerEU: 32
; NumVGPRsForWavesPerEU: 22
; Occupancy: 10
; WaveLimiterHint : 1
; COMPUTE_PGM_RSRC2:SCRATCH_EN: 0
; COMPUTE_PGM_RSRC2:USER_SGPR: 6
; COMPUTE_PGM_RSRC2:TRAP_HANDLER: 0
; COMPUTE_PGM_RSRC2:TGID_X_EN: 1
; COMPUTE_PGM_RSRC2:TGID_Y_EN: 0
; COMPUTE_PGM_RSRC2:TGID_Z_EN: 0
; COMPUTE_PGM_RSRC2:TIDIG_COMP_CNT: 0
	.section	.AMDGPU.gpr_maximums,"",@progbits
	.set amdgpu.max_num_vgpr, 0
	.set amdgpu.max_num_agpr, 0
	.set amdgpu.max_num_sgpr, 0
	.section	.AMDGPU.csdata,"",@progbits
	.type	__hip_cuid_438450ac90d558ea,@object ; @__hip_cuid_438450ac90d558ea
	.section	.bss,"aw",@nobits
	.globl	__hip_cuid_438450ac90d558ea
__hip_cuid_438450ac90d558ea:
	.byte	0                               ; 0x0
	.size	__hip_cuid_438450ac90d558ea, 1

	.ident	"AMD clang version 22.0.0git (https://github.com/RadeonOpenCompute/llvm-project roc-7.2.4 26084 f58b06dce1f9c15707c5f808fd002e18c2accf7e)"
	.section	".note.GNU-stack","",@progbits
	.addrsig
	.addrsig_sym __hip_cuid_438450ac90d558ea
	.amdgpu_metadata
---
amdhsa.kernels:
  - .args:
      - .address_space:  global
        .offset:         0
        .size:           8
        .value_kind:     global_buffer
      - .offset:         8
        .size:           4
        .value_kind:     by_value
      - .offset:         12
        .size:           4
        .value_kind:     by_value
      - .offset:         16
        .size:           4
        .value_kind:     by_value
      - .offset:         24
        .size:           4
        .value_kind:     hidden_block_count_x
      - .offset:         28
        .size:           4
        .value_kind:     hidden_block_count_y
      - .offset:         32
        .size:           4
        .value_kind:     hidden_block_count_z
      - .offset:         36
        .size:           2
        .value_kind:     hidden_group_size_x
      - .offset:         38
        .size:           2
        .value_kind:     hidden_group_size_y
      - .offset:         40
        .size:           2
        .value_kind:     hidden_group_size_z
      - .offset:         42
        .size:           2
        .value_kind:     hidden_remainder_x
      - .offset:         44
        .size:           2
        .value_kind:     hidden_remainder_y
      - .offset:         46
        .size:           2
        .value_kind:     hidden_remainder_z
      - .offset:         64
        .size:           8
        .value_kind:     hidden_global_offset_x
      - .offset:         72
        .size:           8
        .value_kind:     hidden_global_offset_y
      - .offset:         80
        .size:           8
        .value_kind:     hidden_global_offset_z
      - .offset:         88
        .size:           2
        .value_kind:     hidden_grid_dims
    .group_segment_fixed_size: 0
    .kernarg_segment_align: 8
    .kernarg_segment_size: 280
    .language:       OpenCL C
    .language_version:
      - 2
      - 0
    .max_flat_workgroup_size: 1024
    .name:           _ZN9rocsolver6v33100L10reset_infoIiiiEEvPT_T0_T1_S4_
    .private_segment_fixed_size: 0
    .sgpr_count:     12
    .sgpr_spill_count: 0
    .symbol:         _ZN9rocsolver6v33100L10reset_infoIiiiEEvPT_T0_T1_S4_.kd
    .uniform_work_group_size: 1
    .uses_dynamic_stack: false
    .vgpr_count:     4
    .vgpr_spill_count: 0
    .wavefront_size: 64
  - .args:
      - .offset:         0
        .size:           4
        .value_kind:     by_value
      - .offset:         4
        .size:           4
        .value_kind:     by_value
      - .address_space:  global
        .offset:         8
        .size:           8
        .value_kind:     global_buffer
      - .address_space:  global
        .offset:         16
        .size:           8
        .value_kind:     global_buffer
      - .address_space:  global
        .offset:         24
        .size:           8
        .value_kind:     global_buffer
      - .offset:         32
        .size:           4
        .value_kind:     by_value
      - .address_space:  global
        .offset:         40
        .size:           8
        .value_kind:     global_buffer
      - .address_space:  global
        .offset:         48
        .size:           8
        .value_kind:     global_buffer
      - .address_space:  global
        .offset:         56
        .size:           8
        .value_kind:     global_buffer
      - .address_space:  global
        .offset:         64
        .size:           8
        .value_kind:     global_buffer
      - .address_space:  global
        .offset:         72
        .size:           8
        .value_kind:     global_buffer
      - .address_space:  global
        .offset:         80
        .size:           8
        .value_kind:     global_buffer
      - .offset:         88
        .size:           4
        .value_kind:     hidden_block_count_x
      - .offset:         92
        .size:           4
        .value_kind:     hidden_block_count_y
      - .offset:         96
        .size:           4
        .value_kind:     hidden_block_count_z
      - .offset:         100
        .size:           2
        .value_kind:     hidden_group_size_x
      - .offset:         102
        .size:           2
        .value_kind:     hidden_group_size_y
      - .offset:         104
        .size:           2
        .value_kind:     hidden_group_size_z
      - .offset:         106
        .size:           2
        .value_kind:     hidden_remainder_x
      - .offset:         108
        .size:           2
        .value_kind:     hidden_remainder_y
      - .offset:         110
        .size:           2
        .value_kind:     hidden_remainder_z
      - .offset:         128
        .size:           8
        .value_kind:     hidden_global_offset_x
      - .offset:         136
        .size:           8
        .value_kind:     hidden_global_offset_y
      - .offset:         144
        .size:           8
        .value_kind:     hidden_global_offset_z
      - .offset:         152
        .size:           2
        .value_kind:     hidden_grid_dims
    .group_segment_fixed_size: 0
    .kernarg_segment_align: 8
    .kernarg_segment_size: 344
    .language:       OpenCL C
    .language_version:
      - 2
      - 0
    .max_flat_workgroup_size: 1024
    .name:           _ZN9rocsolver6v33100L15rf_sumLU_kernelIfEEviiPiS2_PT_iS2_S2_S4_S2_S2_S4_
    .private_segment_fixed_size: 0
    .sgpr_count:     32
    .sgpr_spill_count: 0
    .symbol:         _ZN9rocsolver6v33100L15rf_sumLU_kernelIfEEviiPiS2_PT_iS2_S2_S4_S2_S2_S4_.kd
    .uniform_work_group_size: 1
    .uses_dynamic_stack: false
    .vgpr_count:     20
    .vgpr_spill_count: 0
    .wavefront_size: 64
  - .args:
      - .offset:         0
        .size:           4
        .value_kind:     by_value
      - .offset:         4
        .size:           4
        .value_kind:     by_value
      - .address_space:  global
        .offset:         8
        .size:           8
        .value_kind:     global_buffer
      - .address_space:  global
        .offset:         16
        .size:           8
        .value_kind:     global_buffer
      - .address_space:  global
        .offset:         24
        .size:           8
        .value_kind:     global_buffer
      - .offset:         32
        .size:           4
        .value_kind:     by_value
      - .address_space:  global
        .offset:         40
        .size:           8
        .value_kind:     global_buffer
      - .address_space:  global
        .offset:         48
        .size:           8
        .value_kind:     global_buffer
      - .address_space:  global
        .offset:         56
        .size:           8
        .value_kind:     global_buffer
      - .address_space:  global
        .offset:         64
        .size:           8
        .value_kind:     global_buffer
      - .address_space:  global
        .offset:         72
        .size:           8
        .value_kind:     global_buffer
      - .address_space:  global
        .offset:         80
        .size:           8
        .value_kind:     global_buffer
      - .offset:         88
        .size:           4
        .value_kind:     hidden_block_count_x
      - .offset:         92
        .size:           4
        .value_kind:     hidden_block_count_y
      - .offset:         96
        .size:           4
        .value_kind:     hidden_block_count_z
      - .offset:         100
        .size:           2
        .value_kind:     hidden_group_size_x
      - .offset:         102
        .size:           2
        .value_kind:     hidden_group_size_y
      - .offset:         104
        .size:           2
        .value_kind:     hidden_group_size_z
      - .offset:         106
        .size:           2
        .value_kind:     hidden_remainder_x
      - .offset:         108
        .size:           2
        .value_kind:     hidden_remainder_y
      - .offset:         110
        .size:           2
        .value_kind:     hidden_remainder_z
      - .offset:         128
        .size:           8
        .value_kind:     hidden_global_offset_x
      - .offset:         136
        .size:           8
        .value_kind:     hidden_global_offset_y
      - .offset:         144
        .size:           8
        .value_kind:     hidden_global_offset_z
      - .offset:         152
        .size:           2
        .value_kind:     hidden_grid_dims
    .group_segment_fixed_size: 0
    .kernarg_segment_align: 8
    .kernarg_segment_size: 344
    .language:       OpenCL C
    .language_version:
      - 2
      - 0
    .max_flat_workgroup_size: 1024
    .name:           _ZN9rocsolver6v33100L15rf_sumLU_kernelIdEEviiPiS2_PT_iS2_S2_S4_S2_S2_S4_
    .private_segment_fixed_size: 0
    .sgpr_count:     32
    .sgpr_spill_count: 0
    .symbol:         _ZN9rocsolver6v33100L15rf_sumLU_kernelIdEEviiPiS2_PT_iS2_S2_S4_S2_S2_S4_.kd
    .uniform_work_group_size: 1
    .uses_dynamic_stack: false
    .vgpr_count:     22
    .vgpr_spill_count: 0
    .wavefront_size: 64
amdhsa.target:   amdgcn-amd-amdhsa--gfx906
amdhsa.version:
  - 1
  - 2
...

	.end_amdgpu_metadata
